;; amdgpu-corpus repo=amd/amd-lab-notes kind=compiled arch=gfx1250 opt=O3
	.amdgcn_target "amdgcn-amd-amdhsa--gfx1250"
	.amdhsa_code_object_version 6
	.text
	.protected	_Z6kernelPdS_S_S_S_S_S_S_S_S_S_S_S_S_S_S_S_S_S_S_S_S_S_S_S_S_S_S_S_S_S_iiiiiiiddddddddddddddd ; -- Begin function _Z6kernelPdS_S_S_S_S_S_S_S_S_S_S_S_S_S_S_S_S_S_S_S_S_S_S_S_S_S_S_S_S_S_iiiiiiiddddddddddddddd
	.globl	_Z6kernelPdS_S_S_S_S_S_S_S_S_S_S_S_S_S_S_S_S_S_S_S_S_S_S_S_S_S_S_S_S_S_iiiiiiiddddddddddddddd
	.p2align	8
	.type	_Z6kernelPdS_S_S_S_S_S_S_S_S_S_S_S_S_S_S_S_S_S_S_S_S_S_S_S_S_S_S_S_S_S_iiiiiiiddddddddddddddd,@function
_Z6kernelPdS_S_S_S_S_S_S_S_S_S_S_S_S_S_S_S_S_S_S_S_S_S_S_S_S_S_S_S_S_S_iiiiiiiddddddddddddddd: ; @_Z6kernelPdS_S_S_S_S_S_S_S_S_S_S_S_S_S_S_S_S_S_S_S_S_S_S_S_S_S_S_S_S_S_iiiiiiiddddddddddddddd
; %bb.0:
	s_clause 0x1
	s_load_b64 s[2:3], s[0:1], 0x19c
	s_load_b128 s[28:31], s[0:1], 0xf8
	s_bfe_u32 s8, ttmp6, 0x40010
	s_bfe_u32 s5, ttmp6, 0x40014
	;; [unrolled: 1-line block ×3, first 2 shown]
	s_and_b32 s7, ttmp7, 0xffff
	s_add_co_i32 s8, s8, 1
	s_lshr_b32 s4, ttmp7, 16
	s_add_co_i32 s5, s5, 1
	s_add_co_i32 s11, s11, 1
	s_bfe_u32 s9, ttmp6, 0x40004
	s_mul_i32 s8, s7, s8
	s_bfe_u32 s6, ttmp6, 0x40008
	s_and_b32 s10, ttmp6, 15
	s_mul_i32 s5, s4, s5
	s_mul_i32 s11, ttmp9, s11
	s_add_co_i32 s9, s9, s8
	s_getreg_b32 s8, hwreg(HW_REG_IB_STS2, 6, 4)
	s_add_co_i32 s6, s6, s5
	s_add_co_i32 s10, s10, s11
	s_wait_kmcnt 0x0
	s_and_b32 s3, s3, 0xffff
	s_lshr_b32 s5, s2, 16
	s_and_b32 s2, s2, 0xffff
	v_and_b32_e32 v1, 0x3ff, v0
	v_bfe_u32 v2, v0, 10, 10
	s_cmp_eq_u32 s8, 0
	v_bfe_u32 v3, v0, 20, 10
	s_cselect_b32 s8, ttmp9, s10
	s_cselect_b32 s7, s7, s9
	v_mad_u32 v0, s8, s2, v1
	v_mad_u32 v1, s7, s5, v2
	s_cselect_b32 s2, s4, s6
	s_delay_alu instid0(SALU_CYCLE_1) | instskip(NEXT) | instid1(VALU_DEP_3)
	v_mad_u32 v2, s2, s3, v3
	v_cmp_ge_i32_e32 vcc_lo, s28, v0
	s_delay_alu instid0(VALU_DEP_3) | instskip(NEXT) | instid1(VALU_DEP_3)
	v_cmp_ge_i32_e64 s2, s29, v1
	v_cmp_ge_i32_e64 s3, s30, v2
	s_and_b32 s2, vcc_lo, s2
	s_delay_alu instid0(SALU_CYCLE_1) | instskip(NEXT) | instid1(SALU_CYCLE_1)
	s_and_b32 s2, s2, s3
	s_and_saveexec_b32 s3, s2
	s_cbranch_execz .LBB0_2
; %bb.1:
	s_clause 0x6
	s_load_b96 s[28:30], s[0:1], 0x108
	s_load_b512 s[52:67], s[0:1], 0x40
	s_load_b512 s[4:19], s[0:1], 0x80
	s_load_b256 s[84:91], s[0:1], 0xc0
	s_load_b512 s[68:83], s[0:1], 0x0
	s_load_b256 s[20:27], s[0:1], 0xe0
	s_load_b512 s[36:51], s[0:1], 0x118
	s_wait_kmcnt 0x0
	v_mad_u32 v1, v2, s28, v1
	v_mul_f64_e64 v[54:55], 0x40080000, s[42:43]
	s_delay_alu instid0(VALU_DEP_2) | instskip(NEXT) | instid1(VALU_DEP_1)
	v_mad_u32 v31, v1, s31, v0
	v_add_nc_u32_e32 v30, s29, v31
	global_load_b64 v[4:5], v31, s[60:61] scale_offset
	s_clause 0x2
	global_load_b64 v[0:1], v30, s[62:63] scale_offset
	global_load_b64 v[2:3], v30, s[64:65] scale_offset
	global_load_b64 v[6:7], v30, s[66:67] scale_offset
	s_wait_loadcnt 0x2
	v_add_f64_e32 v[4:5], v[4:5], v[0:1]
	s_clause 0x8
	global_load_b64 v[14:15], v30, s[4:5] scale_offset
	global_load_b64 v[8:9], v30, s[6:7] scale_offset
	;; [unrolled: 1-line block ×11, first 2 shown]
	s_clause 0x1
	global_load_b64 v[26:27], v31, s[68:69] scale_offset
	global_load_b64 v[18:19], v31, s[70:71] scale_offset
	s_clause 0x1
	global_load_b64 v[38:39], v30, s[88:89] scale_offset
	global_load_b64 v[40:41], v30, s[90:91] scale_offset
	s_wait_loadcnt 0x10
	v_add_f64_e64 v[0:1], v[0:1], -v[2:3]
	v_add_f64_e32 v[4:5], v[4:5], v[2:3]
	s_wait_loadcnt 0xf
	s_delay_alu instid0(VALU_DEP_1) | instskip(SKIP_1) | instid1(VALU_DEP_1)
	v_add_f64_e32 v[4:5], v[4:5], v[6:7]
	s_wait_loadcnt 0xe
	v_add_f64_e32 v[4:5], v[4:5], v[14:15]
	v_add_f64_e64 v[6:7], v[6:7], -v[14:15]
	s_wait_loadcnt 0xb
	v_add_f64_e32 v[0:1], v[0:1], v[16:17]
	s_wait_loadcnt 0x3
	v_mul_f64_e32 v[48:49], s[38:39], v[26:27]
	v_fma_f64 v[50:51], v[26:27], v[26:27], -s[40:41]
	s_wait_loadcnt 0x2
	v_mul_f64_e32 v[18:19], s[36:37], v[18:19]
	v_add_f64_e32 v[4:5], v[4:5], v[8:9]
	v_add_f64_e32 v[6:7], v[6:7], v[16:17]
	v_add_f64_e64 v[8:9], v[8:9], -v[12:13]
	v_add_f64_e64 v[0:1], v[0:1], -v[20:21]
	s_delay_alu instid0(VALU_DEP_4)
	v_add_f64_e32 v[28:29], v[4:5], v[12:13]
	global_load_b64 v[42:43], v30, s[20:21] scale_offset
	global_load_b64 v[4:5], v31, s[72:73] scale_offset
	s_clause 0x1
	global_load_b64 v[44:45], v30, s[22:23] scale_offset
	global_load_b64 v[46:47], v30, s[24:25] scale_offset
	v_add_f64_e32 v[0:1], v[0:1], v[22:23]
	v_add_f64_e64 v[6:7], v[6:7], -v[20:21]
	v_add_f64_e32 v[8:9], v[8:9], v[32:33]
	v_add_f64_e32 v[28:29], v[28:29], v[16:17]
	s_delay_alu instid0(VALU_DEP_3) | instskip(NEXT) | instid1(VALU_DEP_3)
	v_add_f64_e64 v[6:7], v[6:7], -v[22:23]
	v_add_f64_e64 v[8:9], v[8:9], -v[34:35]
	s_delay_alu instid0(VALU_DEP_3) | instskip(NEXT) | instid1(VALU_DEP_3)
	v_add_f64_e32 v[28:29], v[28:29], v[20:21]
	v_add_f64_e32 v[6:7], v[6:7], v[24:25]
	s_delay_alu instid0(VALU_DEP_3) | instskip(NEXT) | instid1(VALU_DEP_3)
	v_add_f64_e64 v[8:9], v[8:9], -v[36:37]
	v_add_f64_e32 v[2:3], v[28:29], v[22:23]
	v_add_f64_e64 v[28:29], v[0:1], -v[24:25]
	global_load_b64 v[0:1], v31, s[74:75] scale_offset
	s_wait_loadcnt 0x5
	v_add_f64_e32 v[6:7], v[6:7], v[40:41]
	v_add_f64_e32 v[8:9], v[8:9], v[38:39]
	;; [unrolled: 1-line block ×4, first 2 shown]
	s_delay_alu instid0(VALU_DEP_3) | instskip(NEXT) | instid1(VALU_DEP_3)
	v_add_f64_e32 v[8:9], v[8:9], v[40:41]
	v_add_f64_e32 v[2:3], v[2:3], v[32:33]
	s_delay_alu instid0(VALU_DEP_1) | instskip(NEXT) | instid1(VALU_DEP_1)
	v_add_f64_e32 v[2:3], v[2:3], v[34:35]
	v_add_f64_e32 v[2:3], v[2:3], v[36:37]
	s_delay_alu instid0(VALU_DEP_1) | instskip(SKIP_2) | instid1(VALU_DEP_3)
	v_add_f64_e32 v[52:53], v[2:3], v[38:39]
	v_fma_f64 v[2:3], v[48:49], v[50:51], -v[18:19]
	v_add_f64_e64 v[18:19], v[28:29], -v[34:35]
	v_add_f64_e32 v[28:29], v[52:53], v[40:41]
	s_delay_alu instid0(VALU_DEP_3) | instskip(NEXT) | instid1(VALU_DEP_3)
	v_mul_f64_e32 v[48:49], v[54:55], v[2:3]
	v_add_f64_e32 v[18:19], v[18:19], v[36:37]
	s_wait_loadcnt 0x4
	v_add_f64_e64 v[6:7], v[6:7], -v[42:43]
	s_delay_alu instid0(VALU_DEP_4) | instskip(NEXT) | instid1(VALU_DEP_4)
	v_add_f64_e32 v[50:51], v[28:29], v[42:43]
	v_mul_f64_e32 v[48:49], s[44:45], v[48:49]
	s_wait_loadcnt 0x3
	v_mul_f64_e32 v[28:29], v[4:5], v[2:3]
	v_add_f64_e64 v[52:53], v[18:19], -v[38:39]
	v_add_f64_e64 v[8:9], v[8:9], -v[42:43]
	s_wait_loadcnt 0x2
	v_add_f64_e32 v[6:7], v[6:7], v[44:45]
	v_add_f64_e32 v[18:19], v[50:51], v[44:45]
	v_fma_f64 v[10:11], s[46:47], v[10:11], -v[48:49]
	global_load_b64 v[50:51], v31, s[76:77] scale_offset
	v_fmac_f64_e32 v[52:53], 0.5, v[28:29]
	v_add_f64_e64 v[12:13], v[8:9], -v[44:45]
	s_wait_loadcnt 0x2
	v_add_f64_e64 v[6:7], v[6:7], -v[46:47]
	v_add_f64_e32 v[18:19], v[18:19], v[46:47]
	v_fmac_f64_e32 v[10:11], s[44:45], v[26:27]
	s_delay_alu instid0(VALU_DEP_4) | instskip(NEXT) | instid1(VALU_DEP_3)
	v_add_f64_e32 v[12:13], v[12:13], v[46:47]
	v_div_scale_f64 v[48:49], null, v[18:19], v[18:19], v[52:53]
	global_store_b64 v31, v[10:11], s[78:79] scale_offset
	global_load_b64 v[10:11], v30, s[80:81] scale_offset
	v_div_scale_f64 v[58:59], vcc_lo, v[52:53], v[18:19], v[52:53]
	s_wait_loadcnt 0x2
	v_mul_f64_e32 v[20:21], v[2:3], v[0:1]
	v_rcp_f64_e32 v[54:55], v[48:49]
	s_delay_alu instid0(VALU_DEP_1) | instskip(NEXT) | instid1(VALU_DEP_1)
	v_fmac_f64_e32 v[6:7], 0.5, v[20:21]
	v_div_scale_f64 v[16:17], null, v[18:19], v[18:19], v[6:7]
	s_delay_alu instid0(TRANS32_DEP_1) | instskip(NEXT) | instid1(VALU_DEP_2)
	v_fma_f64 v[56:57], -v[48:49], v[54:55], 1.0
	v_rcp_f64_e32 v[22:23], v[16:17]
	s_delay_alu instid0(VALU_DEP_1) | instskip(NEXT) | instid1(VALU_DEP_1)
	v_fmac_f64_e32 v[54:55], v[54:55], v[56:57]
	v_fma_f64 v[56:57], -v[48:49], v[54:55], 1.0
	s_delay_alu instid0(TRANS32_DEP_1) | instskip(NEXT) | instid1(VALU_DEP_2)
	v_fma_f64 v[24:25], -v[16:17], v[22:23], 1.0
	v_fmac_f64_e32 v[54:55], v[54:55], v[56:57]
	s_delay_alu instid0(VALU_DEP_2) | instskip(NEXT) | instid1(VALU_DEP_2)
	v_fmac_f64_e32 v[22:23], v[22:23], v[24:25]
	v_mul_f64_e32 v[56:57], v[58:59], v[54:55]
	s_delay_alu instid0(VALU_DEP_2) | instskip(NEXT) | instid1(VALU_DEP_2)
	v_fma_f64 v[24:25], -v[16:17], v[22:23], 1.0
	v_fma_f64 v[48:49], -v[48:49], v[56:57], v[58:59]
	v_mul_f64_e64 v[58:59], s[42:43], 0.5
	s_load_b256 s[36:43], s[0:1], 0x160
	s_delay_alu instid0(VALU_DEP_3)
	v_fmac_f64_e32 v[22:23], v[22:23], v[24:25]
	s_wait_xcnt 0x0
	s_load_b128 s[0:3], s[0:1], 0x180
	s_wait_kmcnt 0x0
	v_mul_f64_e32 v[34:35], s[36:37], v[18:19]
	s_wait_loadcnt 0x1
	v_mul_f64_e32 v[8:9], v[2:3], v[50:51]
	v_div_fmas_f64 v[48:49], v[48:49], v[54:55], v[56:57]
	v_mul_f64_e32 v[58:59], v[58:59], v[2:3]
	v_mul_f64_e64 v[54:55], s[44:45], s[48:49]
	s_delay_alu instid0(VALU_DEP_4) | instskip(NEXT) | instid1(VALU_DEP_3)
	v_fmac_f64_e32 v[12:13], 0.5, v[8:9]
	v_mul_f64_e32 v[56:57], s[44:45], v[58:59]
	s_delay_alu instid0(VALU_DEP_3) | instskip(SKIP_1) | instid1(VALU_DEP_2)
	v_mul_f64_e32 v[54:55], v[54:55], v[26:27]
	s_wait_loadcnt 0x0
	v_fma_f64 v[58:59], s[46:47], v[10:11], v[56:57]
	v_div_fixup_f64 v[10:11], v[48:49], v[18:19], v[52:53]
	s_delay_alu instid0(VALU_DEP_1)
	v_fmac_f64_e32 v[58:59], v[54:55], v[10:11]
	v_mul_f64_e32 v[38:39], v[34:35], v[10:11]
	s_clause 0x1
	global_store_b64 v30, v[58:59], s[80:81] scale_offset
	global_load_b64 v[48:49], v30, s[82:83] scale_offset
	v_fmac_f64_e32 v[38:39], s[0:1], v[28:29]
	s_wait_loadcnt 0x0
	v_fma_f64 v[14:15], s[46:47], v[48:49], v[56:57]
	v_div_scale_f64 v[48:49], vcc_lo, v[6:7], v[18:19], v[6:7]
	s_delay_alu instid0(VALU_DEP_2) | instskip(NEXT) | instid1(VALU_DEP_2)
	v_fma_f64 v[14:15], -v[54:55], v[10:11], v[14:15]
	v_mul_f64_e32 v[24:25], v[48:49], v[22:23]
	s_clause 0x1
	global_store_b64 v30, v[14:15], s[82:83] scale_offset
	global_load_b64 v[14:15], v30, s[52:53] scale_offset
	v_fma_f64 v[16:17], -v[16:17], v[24:25], v[48:49]
	s_delay_alu instid0(VALU_DEP_1) | instskip(SKIP_1) | instid1(VALU_DEP_2)
	v_div_fmas_f64 v[16:17], v[16:17], v[22:23], v[24:25]
	v_div_scale_f64 v[32:33], vcc_lo, v[12:13], v[18:19], v[12:13]
	v_div_fixup_f64 v[6:7], v[16:17], v[18:19], v[6:7]
	v_div_scale_f64 v[16:17], null, v[18:19], v[18:19], v[12:13]
	s_delay_alu instid0(VALU_DEP_1) | instskip(SKIP_1) | instid1(TRANS32_DEP_1)
	v_rcp_f64_e32 v[22:23], v[16:17]
	v_nop
	v_fma_f64 v[24:25], -v[16:17], v[22:23], 1.0
	s_delay_alu instid0(VALU_DEP_1) | instskip(NEXT) | instid1(VALU_DEP_1)
	v_fmac_f64_e32 v[22:23], v[22:23], v[24:25]
	v_fma_f64 v[24:25], -v[16:17], v[22:23], 1.0
	s_delay_alu instid0(VALU_DEP_1) | instskip(NEXT) | instid1(VALU_DEP_1)
	v_fmac_f64_e32 v[22:23], v[22:23], v[24:25]
	v_mul_f64_e32 v[24:25], v[32:33], v[22:23]
	s_delay_alu instid0(VALU_DEP_1) | instskip(SKIP_2) | instid1(VALU_DEP_2)
	v_fma_f64 v[16:17], -v[16:17], v[24:25], v[32:33]
	s_wait_loadcnt 0x0
	v_fma_f64 v[14:15], s[46:47], v[14:15], v[56:57]
	v_div_fmas_f64 v[16:17], v[16:17], v[22:23], v[24:25]
	v_mul_f64_e32 v[24:25], 0xc0180000, v[26:27]
	s_delay_alu instid0(VALU_DEP_3) | instskip(NEXT) | instid1(VALU_DEP_3)
	v_fmac_f64_e32 v[14:15], v[54:55], v[6:7]
	v_div_fixup_f64 v[12:13], v[16:17], v[18:19], v[12:13]
	v_mul_f64_e32 v[16:17], v[6:7], v[6:7]
	s_delay_alu instid0(VALU_DEP_4) | instskip(SKIP_4) | instid1(VALU_DEP_1)
	v_fma_f64 v[24:25], v[24:25], v[2:3], v[18:19]
	s_clause 0x1
	global_store_b64 v30, v[14:15], s[52:53] scale_offset
	global_load_b64 v[14:15], v30, s[54:55] scale_offset
	v_fmac_f64_e32 v[16:17], v[10:11], v[10:11]
	v_fmac_f64_e32 v[16:17], v[12:13], v[12:13]
	s_delay_alu instid0(VALU_DEP_1) | instskip(NEXT) | instid1(VALU_DEP_1)
	v_mul_f64_e32 v[16:17], 0x3ff80000, v[16:17]
	v_fma_f64 v[24:25], -v[18:19], v[16:17], v[24:25]
	s_wait_loadcnt 0x0
	v_fma_f64 v[14:15], s[46:47], v[14:15], v[56:57]
	s_delay_alu instid0(VALU_DEP_1)
	v_fma_f64 v[14:15], -v[54:55], v[6:7], v[14:15]
	s_clause 0x1
	global_store_b64 v30, v[14:15], s[54:55] scale_offset
	global_load_b64 v[14:15], v30, s[56:57] scale_offset
	s_wait_loadcnt 0x0
	v_fma_f64 v[14:15], s[46:47], v[14:15], v[56:57]
	s_delay_alu instid0(VALU_DEP_1)
	v_fmac_f64_e32 v[14:15], v[54:55], v[12:13]
	s_clause 0x1
	global_store_b64 v30, v[14:15], s[56:57] scale_offset
	global_load_b64 v[14:15], v30, s[58:59] scale_offset
	s_wait_loadcnt 0x0
	v_fmac_f64_e32 v[56:57], s[46:47], v[14:15]
	s_delay_alu instid0(VALU_DEP_1) | instskip(SKIP_4) | instid1(VALU_DEP_1)
	v_fma_f64 v[14:15], -v[54:55], v[12:13], v[56:57]
	global_store_b64 v30, v[14:15], s[58:59] scale_offset
	global_load_b64 v[22:23], v31, s[60:61] scale_offset
	s_wait_xcnt 0x1
	v_mul_f64_e32 v[14:15], v[20:21], v[6:7]
	v_fmac_f64_e32 v[14:15], v[28:29], v[10:11]
	s_delay_alu instid0(VALU_DEP_1) | instskip(NEXT) | instid1(VALU_DEP_1)
	v_fmac_f64_e32 v[14:15], v[8:9], v[12:13]
	v_fma_f64 v[36:37], v[28:29], v[10:11], -v[14:15]
	v_fma_f64 v[28:29], v[20:21], v[6:7], -v[14:15]
	s_wait_loadcnt 0x0
	v_mul_f64_e32 v[22:23], s[50:51], v[22:23]
	s_delay_alu instid0(VALU_DEP_1) | instskip(SKIP_2) | instid1(VALU_DEP_3)
	v_fmac_f64_e32 v[22:23], s[40:41], v[24:25]
	v_mul_f64_e32 v[24:25], 0x40080000, v[26:27]
	v_mul_f64_e32 v[26:27], 0.5, v[10:11]
	v_fma_f64 v[22:23], -s[42:43], v[14:15], v[22:23]
	s_delay_alu instid0(VALU_DEP_3) | instskip(NEXT) | instid1(VALU_DEP_3)
	v_fma_f64 v[24:25], v[24:25], v[2:3], v[18:19]
	v_fma_f64 v[26:27], v[10:11], v[26:27], -v[16:17]
	v_mul_f64_e32 v[18:19], s[38:39], v[18:19]
	global_store_b64 v31, v[22:23], s[60:61] scale_offset
	global_load_b64 v[22:23], v30, s[62:63] scale_offset
	v_dual_mul_f64 v[32:33], s[36:37], v[24:25] :: v_dual_add_nc_u32 v31, s30, v31
	s_delay_alu instid0(VALU_DEP_1) | instskip(NEXT) | instid1(VALU_DEP_1)
	v_fma_f64 v[26:27], v[34:35], v[26:27], v[32:33]
	v_fmac_f64_e32 v[26:27], s[0:1], v[36:37]
	v_mul_f64_e32 v[36:37], v[34:35], v[6:7]
	s_delay_alu instid0(VALU_DEP_1) | instskip(SKIP_1) | instid1(VALU_DEP_3)
	v_fmac_f64_e32 v[36:37], s[0:1], v[20:21]
	s_wait_loadcnt 0x0
	v_fma_f64 v[22:23], s[50:51], v[22:23], v[26:27]
	s_delay_alu instid0(VALU_DEP_1) | instskip(SKIP_4) | instid1(VALU_DEP_1)
	v_add_f64_e32 v[22:23], v[38:39], v[22:23]
	global_store_b64 v31, v[22:23], s[62:63] offset:8 scale_offset
	global_load_b64 v[22:23], v30, s[64:65] scale_offset
	s_wait_loadcnt 0x0
	v_fmac_f64_e32 v[26:27], s[50:51], v[22:23]
	v_add_f64_e64 v[22:23], v[26:27], -v[38:39]
	v_mul_f64_e32 v[26:27], 0.5, v[6:7]
	v_add_nc_u32_e32 v38, s31, v31
	global_store_b64 v31, v[22:23], s[64:65] offset:-8 scale_offset
	global_load_b64 v[22:23], v30, s[66:67] scale_offset
	v_fma_f64 v[26:27], v[6:7], v[26:27], -v[16:17]
	s_delay_alu instid0(VALU_DEP_1) | instskip(NEXT) | instid1(VALU_DEP_1)
	v_fma_f64 v[26:27], v[34:35], v[26:27], v[32:33]
	v_fmac_f64_e32 v[26:27], s[0:1], v[28:29]
	v_mul_f64_e32 v[28:29], v[34:35], v[12:13]
	s_delay_alu instid0(VALU_DEP_1) | instskip(SKIP_1) | instid1(VALU_DEP_3)
	v_fmac_f64_e32 v[28:29], s[0:1], v[8:9]
	s_wait_loadcnt 0x0
	v_fma_f64 v[22:23], s[50:51], v[22:23], v[26:27]
	s_delay_alu instid0(VALU_DEP_1) | instskip(SKIP_4) | instid1(VALU_DEP_1)
	v_add_f64_e32 v[22:23], v[36:37], v[22:23]
	global_store_b64 v38, v[22:23], s[66:67] scale_offset
	global_load_b64 v[22:23], v30, s[4:5] scale_offset
	s_wait_loadcnt 0x0
	v_fmac_f64_e32 v[26:27], s[50:51], v[22:23]
	v_add_f64_e64 v[22:23], v[26:27], -v[36:37]
	v_subrev_nc_u32_e32 v36, s31, v31
	v_mul_f64_e32 v[26:27], 0.5, v[12:13]
	global_store_b64 v36, v[22:23], s[4:5] scale_offset
	global_load_b64 v[22:23], v30, s[6:7] scale_offset
	v_fma_f64 v[26:27], v[12:13], v[26:27], -v[16:17]
	s_delay_alu instid0(VALU_DEP_1) | instskip(SKIP_1) | instid1(VALU_DEP_1)
	v_fmac_f64_e32 v[32:33], v[34:35], v[26:27]
	v_fma_f64 v[26:27], v[8:9], v[12:13], -v[14:15]
	v_fmac_f64_e32 v[32:33], s[0:1], v[26:27]
	s_mul_i32 s0, s28, s31
	s_delay_alu instid0(SALU_CYCLE_1) | instskip(SKIP_2) | instid1(VALU_DEP_3)
	v_add_nc_u32_e32 v37, s0, v31
	v_subrev_nc_u32_e32 v31, s0, v31
	s_wait_loadcnt 0x0
	v_fma_f64 v[22:23], s[50:51], v[22:23], v[32:33]
	s_delay_alu instid0(VALU_DEP_1) | instskip(SKIP_4) | instid1(VALU_DEP_1)
	v_add_f64_e32 v[22:23], v[28:29], v[22:23]
	global_store_b64 v37, v[22:23], s[6:7] scale_offset
	global_load_b64 v[22:23], v30, s[8:9] scale_offset
	s_wait_loadcnt 0x0
	v_fmac_f64_e32 v[32:33], s[50:51], v[22:23]
	v_add_f64_e64 v[22:23], v[32:33], -v[28:29]
	v_add_f64_e32 v[28:29], v[10:11], v[6:7]
	global_store_b64 v31, v[22:23], s[8:9] scale_offset
	global_load_b64 v[26:27], v30, s[10:11] scale_offset
	v_mul_f64_e32 v[32:33], 0.5, v[28:29]
	s_wait_xcnt 0x1
	v_mul_f64_e32 v[22:23], s[38:39], v[24:25]
	s_delay_alu instid0(VALU_DEP_2) | instskip(SKIP_2) | instid1(VALU_DEP_3)
	v_fma_f64 v[24:25], v[28:29], v[32:33], -v[16:17]
	v_fma_f64 v[32:33], v[4:5], v[2:3], v[20:21]
	v_fma_f64 v[20:21], v[4:5], v[2:3], -v[20:21]
	v_fma_f64 v[24:25], v[18:19], v[24:25], v[22:23]
	s_delay_alu instid0(VALU_DEP_3) | instskip(SKIP_1) | instid1(VALU_DEP_2)
	v_fma_f64 v[34:35], v[32:33], v[28:29], -v[14:15]
	v_mul_f64_e32 v[28:29], v[18:19], v[28:29]
	v_fmac_f64_e32 v[24:25], s[2:3], v[34:35]
	s_delay_alu instid0(VALU_DEP_2) | instskip(SKIP_1) | instid1(VALU_DEP_2)
	v_fmac_f64_e32 v[28:29], s[2:3], v[32:33]
	s_wait_loadcnt 0x0
	v_fma_f64 v[26:27], s[50:51], v[26:27], v[24:25]
	s_delay_alu instid0(VALU_DEP_1)
	v_add_f64_e32 v[26:27], v[28:29], v[26:27]
	global_store_b64 v38, v[26:27], s[10:11] offset:8 scale_offset
	global_load_b64 v[26:27], v30, s[12:13] scale_offset
	s_wait_loadcnt 0x0
	v_fmac_f64_e32 v[24:25], s[50:51], v[26:27]
	v_add_f64_e64 v[26:27], v[10:11], -v[6:7]
	s_delay_alu instid0(VALU_DEP_2) | instskip(NEXT) | instid1(VALU_DEP_2)
	v_add_f64_e64 v[24:25], v[24:25], -v[28:29]
	v_mul_f64_e32 v[28:29], 0.5, v[26:27]
	v_fma_f64 v[32:33], v[20:21], v[26:27], -v[14:15]
	global_store_b64 v36, v[24:25], s[12:13] offset:-8 scale_offset
	global_load_b64 v[24:25], v30, s[14:15] scale_offset
	v_fma_f64 v[28:29], v[26:27], v[28:29], -v[16:17]
	v_mul_f64_e32 v[26:27], v[18:19], v[26:27]
	s_delay_alu instid0(VALU_DEP_2) | instskip(NEXT) | instid1(VALU_DEP_2)
	v_fma_f64 v[28:29], v[18:19], v[28:29], v[22:23]
	v_fmac_f64_e32 v[26:27], s[2:3], v[20:21]
	s_delay_alu instid0(VALU_DEP_2) | instskip(SKIP_1) | instid1(VALU_DEP_1)
	v_fmac_f64_e32 v[28:29], s[2:3], v[32:33]
	s_wait_loadcnt 0x0
	v_fma_f64 v[20:21], s[50:51], v[24:25], v[28:29]
	v_add_f64_e32 v[24:25], v[10:11], v[12:13]
	v_add_f64_e64 v[10:11], v[10:11], -v[12:13]
	s_delay_alu instid0(VALU_DEP_3) | instskip(SKIP_4) | instid1(VALU_DEP_1)
	v_add_f64_e32 v[20:21], v[26:27], v[20:21]
	global_store_b64 v36, v[20:21], s[14:15] offset:8 scale_offset
	global_load_b64 v[20:21], v30, s[16:17] scale_offset
	s_wait_loadcnt 0x0
	v_fmac_f64_e32 v[28:29], s[50:51], v[20:21]
	v_add_f64_e64 v[20:21], v[28:29], -v[26:27]
	v_mul_f64_e32 v[26:27], 0.5, v[24:25]
	v_fma_f64 v[28:29], v[4:5], v[2:3], v[8:9]
	v_fma_f64 v[4:5], v[4:5], v[2:3], -v[8:9]
	global_store_b64 v38, v[20:21], s[16:17] offset:-8 scale_offset
	global_load_b64 v[20:21], v30, s[18:19] scale_offset
	v_fma_f64 v[26:27], v[24:25], v[26:27], -v[16:17]
	v_fma_f64 v[32:33], v[28:29], v[24:25], -v[14:15]
	v_mul_f64_e32 v[24:25], v[18:19], v[24:25]
	s_delay_alu instid0(VALU_DEP_3) | instskip(NEXT) | instid1(VALU_DEP_2)
	v_fma_f64 v[26:27], v[18:19], v[26:27], v[22:23]
	v_fmac_f64_e32 v[24:25], s[2:3], v[28:29]
	s_delay_alu instid0(VALU_DEP_2) | instskip(SKIP_1) | instid1(VALU_DEP_1)
	v_fmac_f64_e32 v[26:27], s[2:3], v[32:33]
	s_wait_loadcnt 0x0
	v_fma_f64 v[20:21], s[50:51], v[20:21], v[26:27]
	s_delay_alu instid0(VALU_DEP_1) | instskip(SKIP_4) | instid1(VALU_DEP_1)
	v_add_f64_e32 v[20:21], v[24:25], v[20:21]
	global_store_b64 v37, v[20:21], s[18:19] offset:8 scale_offset
	global_load_b64 v[20:21], v30, s[84:85] scale_offset
	s_wait_loadcnt 0x0
	v_fmac_f64_e32 v[26:27], s[50:51], v[20:21]
	v_add_f64_e64 v[20:21], v[26:27], -v[24:25]
	v_mul_f64_e32 v[24:25], 0.5, v[10:11]
	v_fma_f64 v[26:27], v[4:5], v[10:11], -v[14:15]
	global_store_b64 v31, v[20:21], s[84:85] offset:-8 scale_offset
	global_load_b64 v[20:21], v30, s[86:87] scale_offset
	v_fma_f64 v[24:25], v[10:11], v[24:25], -v[16:17]
	v_mul_f64_e32 v[10:11], v[18:19], v[10:11]
	s_delay_alu instid0(VALU_DEP_2) | instskip(NEXT) | instid1(VALU_DEP_2)
	v_fma_f64 v[24:25], v[18:19], v[24:25], v[22:23]
	v_fmac_f64_e32 v[10:11], s[2:3], v[4:5]
	s_delay_alu instid0(VALU_DEP_2) | instskip(SKIP_1) | instid1(VALU_DEP_1)
	v_fmac_f64_e32 v[24:25], s[2:3], v[26:27]
	s_wait_loadcnt 0x0
	v_fma_f64 v[4:5], s[50:51], v[20:21], v[24:25]
	s_delay_alu instid0(VALU_DEP_1) | instskip(SKIP_4) | instid1(VALU_DEP_1)
	v_add_f64_e32 v[4:5], v[10:11], v[4:5]
	global_store_b64 v31, v[4:5], s[86:87] offset:8 scale_offset
	global_load_b64 v[4:5], v30, s[88:89] scale_offset
	s_wait_loadcnt 0x0
	v_fmac_f64_e32 v[24:25], s[50:51], v[4:5]
	v_add_f64_e64 v[4:5], v[24:25], -v[10:11]
	v_add_f64_e32 v[10:11], v[6:7], v[12:13]
	v_fma_f64 v[24:25], v[2:3], v[0:1], v[8:9]
	v_add_f64_e64 v[6:7], v[6:7], -v[12:13]
	v_fma_f64 v[0:1], v[2:3], v[0:1], -v[8:9]
	global_store_b64 v37, v[4:5], s[88:89] offset:-8 scale_offset
	global_load_b64 v[4:5], v30, s[90:91] scale_offset
	v_mul_f64_e32 v[20:21], 0.5, v[10:11]
	v_fma_f64 v[26:27], v[24:25], v[10:11], -v[14:15]
	v_fma_f64 v[2:3], v[0:1], v[6:7], -v[14:15]
	s_delay_alu instid0(VALU_DEP_3) | instskip(SKIP_1) | instid1(VALU_DEP_2)
	v_fma_f64 v[20:21], v[10:11], v[20:21], -v[16:17]
	v_mul_f64_e32 v[10:11], v[18:19], v[10:11]
	v_fma_f64 v[20:21], v[18:19], v[20:21], v[22:23]
	s_delay_alu instid0(VALU_DEP_2) | instskip(SKIP_1) | instid1(VALU_DEP_3)
	v_fmac_f64_e32 v[10:11], s[2:3], v[24:25]
	v_add_nc_u32_e32 v24, s0, v38
	v_fmac_f64_e32 v[20:21], s[2:3], v[26:27]
	s_wait_loadcnt 0x0
	s_delay_alu instid0(VALU_DEP_1) | instskip(NEXT) | instid1(VALU_DEP_1)
	v_fma_f64 v[4:5], s[50:51], v[4:5], v[20:21]
	v_add_f64_e32 v[4:5], v[10:11], v[4:5]
	global_store_b64 v24, v[4:5], s[90:91] scale_offset
	global_load_b64 v[4:5], v30, s[20:21] scale_offset
	s_wait_loadcnt 0x0
	v_fmac_f64_e32 v[20:21], s[50:51], v[4:5]
	s_delay_alu instid0(VALU_DEP_1) | instskip(SKIP_4) | instid1(VALU_DEP_1)
	v_add_f64_e64 v[4:5], v[20:21], -v[10:11]
	v_subrev_nc_u32_e32 v10, s0, v36
	global_store_b64 v10, v[4:5], s[20:21] scale_offset
	global_load_b64 v[4:5], v30, s[22:23] scale_offset
	v_mul_f64_e32 v[10:11], 0.5, v[6:7]
	v_fma_f64 v[10:11], v[6:7], v[10:11], -v[16:17]
	v_mul_f64_e32 v[6:7], v[18:19], v[6:7]
	s_delay_alu instid0(VALU_DEP_2) | instskip(NEXT) | instid1(VALU_DEP_2)
	v_fmac_f64_e32 v[22:23], v[18:19], v[10:11]
	v_fmac_f64_e32 v[6:7], s[2:3], v[0:1]
	s_delay_alu instid0(VALU_DEP_2) | instskip(SKIP_2) | instid1(VALU_DEP_2)
	v_fmac_f64_e32 v[22:23], s[2:3], v[2:3]
	v_subrev_nc_u32_e32 v2, s0, v38
	s_wait_loadcnt 0x0
	v_fma_f64 v[0:1], s[50:51], v[4:5], v[22:23]
	s_delay_alu instid0(VALU_DEP_1)
	v_add_f64_e32 v[0:1], v[6:7], v[0:1]
	global_store_b64 v2, v[0:1], s[22:23] scale_offset
	global_load_b64 v[0:1], v30, s[24:25] scale_offset
	v_add_nc_u32_e32 v2, s0, v36
	s_wait_loadcnt 0x0
	v_fmac_f64_e32 v[22:23], s[50:51], v[0:1]
	s_delay_alu instid0(VALU_DEP_1)
	v_add_f64_e64 v[0:1], v[22:23], -v[6:7]
	global_store_b64 v2, v[0:1], s[24:25] scale_offset
.LBB0_2:
	s_endpgm
	.section	.rodata,"a",@progbits
	.p2align	6, 0x0
	.amdhsa_kernel _Z6kernelPdS_S_S_S_S_S_S_S_S_S_S_S_S_S_S_S_S_S_S_S_S_S_S_S_S_S_S_S_S_S_iiiiiiiddddddddddddddd
		.amdhsa_group_segment_fixed_size 0
		.amdhsa_private_segment_fixed_size 0
		.amdhsa_kernarg_size 656
		.amdhsa_user_sgpr_count 2
		.amdhsa_user_sgpr_dispatch_ptr 0
		.amdhsa_user_sgpr_queue_ptr 0
		.amdhsa_user_sgpr_kernarg_segment_ptr 1
		.amdhsa_user_sgpr_dispatch_id 0
		.amdhsa_user_sgpr_kernarg_preload_length 0
		.amdhsa_user_sgpr_kernarg_preload_offset 0
		.amdhsa_user_sgpr_private_segment_size 0
		.amdhsa_wavefront_size32 1
		.amdhsa_uses_dynamic_stack 0
		.amdhsa_enable_private_segment 0
		.amdhsa_system_sgpr_workgroup_id_x 1
		.amdhsa_system_sgpr_workgroup_id_y 1
		.amdhsa_system_sgpr_workgroup_id_z 1
		.amdhsa_system_sgpr_workgroup_info 0
		.amdhsa_system_vgpr_workitem_id 2
		.amdhsa_next_free_vgpr 60
		.amdhsa_next_free_sgpr 92
		.amdhsa_named_barrier_count 0
		.amdhsa_reserve_vcc 1
		.amdhsa_float_round_mode_32 0
		.amdhsa_float_round_mode_16_64 0
		.amdhsa_float_denorm_mode_32 3
		.amdhsa_float_denorm_mode_16_64 3
		.amdhsa_fp16_overflow 0
		.amdhsa_memory_ordered 1
		.amdhsa_forward_progress 1
		.amdhsa_inst_pref_size 25
		.amdhsa_round_robin_scheduling 0
		.amdhsa_exception_fp_ieee_invalid_op 0
		.amdhsa_exception_fp_denorm_src 0
		.amdhsa_exception_fp_ieee_div_zero 0
		.amdhsa_exception_fp_ieee_overflow 0
		.amdhsa_exception_fp_ieee_underflow 0
		.amdhsa_exception_fp_ieee_inexact 0
		.amdhsa_exception_int_div_zero 0
	.end_amdhsa_kernel
	.text
.Lfunc_end0:
	.size	_Z6kernelPdS_S_S_S_S_S_S_S_S_S_S_S_S_S_S_S_S_S_S_S_S_S_S_S_S_S_S_S_S_S_iiiiiiiddddddddddddddd, .Lfunc_end0-_Z6kernelPdS_S_S_S_S_S_S_S_S_S_S_S_S_S_S_S_S_S_S_S_S_S_S_S_S_S_S_S_S_S_iiiiiiiddddddddddddddd
                                        ; -- End function
	.set _Z6kernelPdS_S_S_S_S_S_S_S_S_S_S_S_S_S_S_S_S_S_S_S_S_S_S_S_S_S_S_S_S_S_iiiiiiiddddddddddddddd.num_vgpr, 60
	.set _Z6kernelPdS_S_S_S_S_S_S_S_S_S_S_S_S_S_S_S_S_S_S_S_S_S_S_S_S_S_S_S_S_S_iiiiiiiddddddddddddddd.num_agpr, 0
	.set _Z6kernelPdS_S_S_S_S_S_S_S_S_S_S_S_S_S_S_S_S_S_S_S_S_S_S_S_S_S_S_S_S_S_iiiiiiiddddddddddddddd.numbered_sgpr, 92
	.set _Z6kernelPdS_S_S_S_S_S_S_S_S_S_S_S_S_S_S_S_S_S_S_S_S_S_S_S_S_S_S_S_S_S_iiiiiiiddddddddddddddd.num_named_barrier, 0
	.set _Z6kernelPdS_S_S_S_S_S_S_S_S_S_S_S_S_S_S_S_S_S_S_S_S_S_S_S_S_S_S_S_S_S_iiiiiiiddddddddddddddd.private_seg_size, 0
	.set _Z6kernelPdS_S_S_S_S_S_S_S_S_S_S_S_S_S_S_S_S_S_S_S_S_S_S_S_S_S_S_S_S_S_iiiiiiiddddddddddddddd.uses_vcc, 1
	.set _Z6kernelPdS_S_S_S_S_S_S_S_S_S_S_S_S_S_S_S_S_S_S_S_S_S_S_S_S_S_S_S_S_S_iiiiiiiddddddddddddddd.uses_flat_scratch, 0
	.set _Z6kernelPdS_S_S_S_S_S_S_S_S_S_S_S_S_S_S_S_S_S_S_S_S_S_S_S_S_S_S_S_S_S_iiiiiiiddddddddddddddd.has_dyn_sized_stack, 0
	.set _Z6kernelPdS_S_S_S_S_S_S_S_S_S_S_S_S_S_S_S_S_S_S_S_S_S_S_S_S_S_S_S_S_S_iiiiiiiddddddddddddddd.has_recursion, 0
	.set _Z6kernelPdS_S_S_S_S_S_S_S_S_S_S_S_S_S_S_S_S_S_S_S_S_S_S_S_S_S_S_S_S_S_iiiiiiiddddddddddddddd.has_indirect_call, 0
	.section	.AMDGPU.csdata,"",@progbits
; Kernel info:
; codeLenInByte = 3200
; TotalNumSgprs: 94
; NumVgprs: 60
; ScratchSize: 0
; MemoryBound: 0
; FloatMode: 240
; IeeeMode: 1
; LDSByteSize: 0 bytes/workgroup (compile time only)
; SGPRBlocks: 0
; VGPRBlocks: 3
; NumSGPRsForWavesPerEU: 94
; NumVGPRsForWavesPerEU: 60
; NamedBarCnt: 0
; Occupancy: 16
; WaveLimiterHint : 1
; COMPUTE_PGM_RSRC2:SCRATCH_EN: 0
; COMPUTE_PGM_RSRC2:USER_SGPR: 2
; COMPUTE_PGM_RSRC2:TRAP_HANDLER: 0
; COMPUTE_PGM_RSRC2:TGID_X_EN: 1
; COMPUTE_PGM_RSRC2:TGID_Y_EN: 1
; COMPUTE_PGM_RSRC2:TGID_Z_EN: 1
; COMPUTE_PGM_RSRC2:TIDIG_COMP_CNT: 2
	.text
	.p2alignl 7, 3214868480
	.fill 96, 4, 3214868480
	.section	.AMDGPU.gpr_maximums,"",@progbits
	.set amdgpu.max_num_vgpr, 0
	.set amdgpu.max_num_agpr, 0
	.set amdgpu.max_num_sgpr, 0
	.text
	.type	__hip_cuid_1565a89913c9e98c,@object ; @__hip_cuid_1565a89913c9e98c
	.section	.bss,"aw",@nobits
	.globl	__hip_cuid_1565a89913c9e98c
__hip_cuid_1565a89913c9e98c:
	.byte	0                               ; 0x0
	.size	__hip_cuid_1565a89913c9e98c, 1

	.ident	"AMD clang version 22.0.0git (https://github.com/RadeonOpenCompute/llvm-project roc-7.2.4 26084 f58b06dce1f9c15707c5f808fd002e18c2accf7e)"
	.section	".note.GNU-stack","",@progbits
	.addrsig
	.addrsig_sym __hip_cuid_1565a89913c9e98c
	.amdgpu_metadata
---
amdhsa.kernels:
  - .args:
      - .address_space:  global
        .offset:         0
        .size:           8
        .value_kind:     global_buffer
      - .address_space:  global
        .offset:         8
        .size:           8
        .value_kind:     global_buffer
      - .address_space:  global
        .offset:         16
        .size:           8
        .value_kind:     global_buffer
      - .address_space:  global
        .offset:         24
        .size:           8
        .value_kind:     global_buffer
      - .address_space:  global
        .offset:         32
        .size:           8
        .value_kind:     global_buffer
      - .address_space:  global
        .offset:         40
        .size:           8
        .value_kind:     global_buffer
      - .address_space:  global
        .offset:         48
        .size:           8
        .value_kind:     global_buffer
      - .address_space:  global
        .offset:         56
        .size:           8
        .value_kind:     global_buffer
      - .address_space:  global
        .offset:         64
        .size:           8
        .value_kind:     global_buffer
      - .address_space:  global
        .offset:         72
        .size:           8
        .value_kind:     global_buffer
      - .address_space:  global
        .offset:         80
        .size:           8
        .value_kind:     global_buffer
      - .address_space:  global
        .offset:         88
        .size:           8
        .value_kind:     global_buffer
      - .address_space:  global
        .offset:         96
        .size:           8
        .value_kind:     global_buffer
      - .address_space:  global
        .offset:         104
        .size:           8
        .value_kind:     global_buffer
      - .address_space:  global
        .offset:         112
        .size:           8
        .value_kind:     global_buffer
      - .address_space:  global
        .offset:         120
        .size:           8
        .value_kind:     global_buffer
      - .address_space:  global
        .offset:         128
        .size:           8
        .value_kind:     global_buffer
      - .address_space:  global
        .offset:         136
        .size:           8
        .value_kind:     global_buffer
      - .address_space:  global
        .offset:         144
        .size:           8
        .value_kind:     global_buffer
      - .address_space:  global
        .offset:         152
        .size:           8
        .value_kind:     global_buffer
      - .address_space:  global
        .offset:         160
        .size:           8
        .value_kind:     global_buffer
      - .address_space:  global
        .offset:         168
        .size:           8
        .value_kind:     global_buffer
      - .address_space:  global
        .offset:         176
        .size:           8
        .value_kind:     global_buffer
      - .address_space:  global
        .offset:         184
        .size:           8
        .value_kind:     global_buffer
      - .address_space:  global
        .offset:         192
        .size:           8
        .value_kind:     global_buffer
      - .address_space:  global
        .offset:         200
        .size:           8
        .value_kind:     global_buffer
      - .address_space:  global
        .offset:         208
        .size:           8
        .value_kind:     global_buffer
      - .address_space:  global
        .offset:         216
        .size:           8
        .value_kind:     global_buffer
      - .address_space:  global
        .offset:         224
        .size:           8
        .value_kind:     global_buffer
      - .address_space:  global
        .offset:         232
        .size:           8
        .value_kind:     global_buffer
      - .address_space:  global
        .offset:         240
        .size:           8
        .value_kind:     global_buffer
      - .offset:         248
        .size:           4
        .value_kind:     by_value
      - .offset:         252
        .size:           4
        .value_kind:     by_value
      - .offset:         256
        .size:           4
        .value_kind:     by_value
      - .offset:         260
        .size:           4
        .value_kind:     by_value
      - .offset:         264
        .size:           4
        .value_kind:     by_value
      - .offset:         268
        .size:           4
        .value_kind:     by_value
      - .offset:         272
        .size:           4
        .value_kind:     by_value
      - .offset:         280
        .size:           8
        .value_kind:     by_value
      - .offset:         288
        .size:           8
        .value_kind:     by_value
      - .offset:         296
        .size:           8
        .value_kind:     by_value
      - .offset:         304
        .size:           8
        .value_kind:     by_value
      - .offset:         312
        .size:           8
        .value_kind:     by_value
      - .offset:         320
        .size:           8
        .value_kind:     by_value
      - .offset:         328
        .size:           8
        .value_kind:     by_value
      - .offset:         336
        .size:           8
        .value_kind:     by_value
      - .offset:         344
        .size:           8
        .value_kind:     by_value
      - .offset:         352
        .size:           8
        .value_kind:     by_value
      - .offset:         360
        .size:           8
        .value_kind:     by_value
      - .offset:         368
        .size:           8
        .value_kind:     by_value
      - .offset:         376
        .size:           8
        .value_kind:     by_value
      - .offset:         384
        .size:           8
        .value_kind:     by_value
      - .offset:         392
        .size:           8
        .value_kind:     by_value
      - .offset:         400
        .size:           4
        .value_kind:     hidden_block_count_x
      - .offset:         404
        .size:           4
        .value_kind:     hidden_block_count_y
      - .offset:         408
        .size:           4
        .value_kind:     hidden_block_count_z
      - .offset:         412
        .size:           2
        .value_kind:     hidden_group_size_x
      - .offset:         414
        .size:           2
        .value_kind:     hidden_group_size_y
      - .offset:         416
        .size:           2
        .value_kind:     hidden_group_size_z
      - .offset:         418
        .size:           2
        .value_kind:     hidden_remainder_x
      - .offset:         420
        .size:           2
        .value_kind:     hidden_remainder_y
      - .offset:         422
        .size:           2
        .value_kind:     hidden_remainder_z
      - .offset:         440
        .size:           8
        .value_kind:     hidden_global_offset_x
      - .offset:         448
        .size:           8
        .value_kind:     hidden_global_offset_y
      - .offset:         456
        .size:           8
        .value_kind:     hidden_global_offset_z
      - .offset:         464
        .size:           2
        .value_kind:     hidden_grid_dims
    .group_segment_fixed_size: 0
    .kernarg_segment_align: 8
    .kernarg_segment_size: 656
    .language:       OpenCL C
    .language_version:
      - 2
      - 0
    .max_flat_workgroup_size: 1024
    .name:           _Z6kernelPdS_S_S_S_S_S_S_S_S_S_S_S_S_S_S_S_S_S_S_S_S_S_S_S_S_S_S_S_S_S_iiiiiiiddddddddddddddd
    .private_segment_fixed_size: 0
    .sgpr_count:     94
    .sgpr_spill_count: 0
    .symbol:         _Z6kernelPdS_S_S_S_S_S_S_S_S_S_S_S_S_S_S_S_S_S_S_S_S_S_S_S_S_S_S_S_S_S_iiiiiiiddddddddddddddd.kd
    .uniform_work_group_size: 1
    .uses_dynamic_stack: false
    .vgpr_count:     60
    .vgpr_spill_count: 0
    .wavefront_size: 32
amdhsa.target:   amdgcn-amd-amdhsa--gfx1250
amdhsa.version:
  - 1
  - 2
...

	.end_amdgpu_metadata
